;; amdgpu-corpus repo=ROCm/rocFFT kind=compiled arch=gfx1201 opt=O3
	.text
	.amdgcn_target "amdgcn-amd-amdhsa--gfx1201"
	.amdhsa_code_object_version 6
	.protected	fft_rtc_back_len50_factors_10_5_wgs_50_tpt_5_dp_op_CI_CI_sbrc_z_xy_unaligned ; -- Begin function fft_rtc_back_len50_factors_10_5_wgs_50_tpt_5_dp_op_CI_CI_sbrc_z_xy_unaligned
	.globl	fft_rtc_back_len50_factors_10_5_wgs_50_tpt_5_dp_op_CI_CI_sbrc_z_xy_unaligned
	.p2align	8
	.type	fft_rtc_back_len50_factors_10_5_wgs_50_tpt_5_dp_op_CI_CI_sbrc_z_xy_unaligned,@function
fft_rtc_back_len50_factors_10_5_wgs_50_tpt_5_dp_op_CI_CI_sbrc_z_xy_unaligned: ; @fft_rtc_back_len50_factors_10_5_wgs_50_tpt_5_dp_op_CI_CI_sbrc_z_xy_unaligned
; %bb.0:
	s_load_b256 s[4:11], s[0:1], 0x0
	s_mov_b32 s27, 0
	s_wait_kmcnt 0x0
	s_load_b128 s[12:15], s[8:9], 0x8
	s_load_b32 s26, s[10:11], 0x10
	s_wait_kmcnt 0x0
	s_add_co_i32 s2, s12, -1
	s_delay_alu instid0(SALU_CYCLE_1) | instskip(NEXT) | instid1(SALU_CYCLE_1)
	s_mul_hi_u32 s2, s2, 0xcccccccd
	s_lshr_b32 s3, s2, 3
	s_delay_alu instid0(SALU_CYCLE_1) | instskip(NEXT) | instid1(SALU_CYCLE_1)
	s_add_co_i32 s8, s3, 1
	s_mul_i32 s9, s8, s14
	s_cvt_f32_u32 s13, s8
	s_cvt_f32_u32 s2, s9
	s_sub_co_i32 s14, 0, s9
	s_delay_alu instid0(SALU_CYCLE_2) | instskip(NEXT) | instid1(TRANS32_DEP_1)
	v_rcp_iflag_f32_e32 v1, s2
	v_readfirstlane_b32 s2, v1
	v_rcp_iflag_f32_e32 v1, s13
	s_delay_alu instid0(VALU_DEP_1) | instskip(SKIP_1) | instid1(SALU_CYCLE_2)
	s_mul_f32 s2, s2, 0x4f7ffffe
	s_wait_alu 0xfffe
	s_cvt_u32_f32 s2, s2
	s_wait_alu 0xfffe
	s_delay_alu instid0(SALU_CYCLE_2) | instskip(NEXT) | instid1(SALU_CYCLE_1)
	s_mul_i32 s14, s14, s2
	s_mul_hi_u32 s13, s2, s14
	s_delay_alu instid0(TRANS32_DEP_1)
	v_readfirstlane_b32 s14, v1
	s_wait_alu 0xfffe
	s_add_co_i32 s2, s2, s13
	v_mul_u32_u24_e32 v1, 0x51f, v0
	s_wait_alu 0xfffe
	s_mul_hi_u32 s2, ttmp9, s2
	s_mul_f32 s14, s14, 0x4f7ffffe
	s_wait_alu 0xfffe
	s_mul_i32 s13, s2, s9
	s_add_co_i32 s15, s2, 1
	s_wait_alu 0xfffe
	s_sub_co_i32 s13, ttmp9, s13
	v_lshrrev_b32_e32 v3, 16, v1
	s_wait_alu 0xfffe
	s_sub_co_i32 s16, s13, s9
	s_cmp_ge_u32 s13, s9
	s_cselect_b32 s2, s15, s2
	s_cselect_b32 s13, s16, s13
	s_wait_alu 0xfffe
	s_add_co_i32 s15, s2, 1
	s_cmp_ge_u32 s13, s9
	s_cvt_u32_f32 s13, s14
	s_cselect_b32 s2, s15, s2
	s_not_b32 s3, s3
	s_wait_alu 0xfffe
	s_mul_i32 s9, s2, s9
	s_mul_i32 s3, s3, s13
	s_sub_co_i32 s9, ttmp9, s9
	s_wait_alu 0xfffe
	s_mul_hi_u32 s3, s13, s3
	s_load_b64 s[14:15], s[0:1], 0x20
	s_add_co_i32 s13, s13, s3
	v_mul_lo_u16 v1, v3, 50
	s_wait_alu 0xfffe
	s_mul_hi_u32 s3, s9, s13
	s_mul_hi_u32 s13, ttmp9, s13
	s_wait_alu 0xfffe
	s_mul_i32 s16, s3, s8
	s_delay_alu instid0(SALU_CYCLE_1)
	s_sub_co_i32 s9, s9, s16
	s_add_co_i32 s16, s3, 1
	s_sub_co_i32 s17, s9, s8
	s_cmp_ge_u32 s9, s8
	v_sub_nc_u16 v1, v0, v1
	s_cselect_b32 s3, s16, s3
	s_cselect_b32 s9, s17, s9
	s_wait_alu 0xfffe
	s_add_co_i32 s16, s3, 1
	s_cmp_ge_u32 s9, s8
	s_mul_i32 s9, s13, s8
	s_cselect_b32 s13, s16, s3
	s_load_b128 s[16:19], s[10:11], 0x0
	s_sub_co_i32 s3, ttmp9, s9
	v_and_b32_e32 v4, 0xffff, v1
	s_wait_alu 0xfffe
	s_sub_co_i32 s9, s3, s8
	s_cmp_ge_u32 s3, s8
	s_cselect_b32 s3, s9, s3
	s_wait_alu 0xfffe
	s_sub_co_i32 s9, s3, s8
	s_cmp_ge_u32 s3, s8
	s_wait_kmcnt 0x0
	s_cselect_b32 s19, s9, s3
	s_lshl_b64 s[6:7], s[6:7], 3
	s_mov_b32 s3, s27
	s_add_nc_u64 s[8:9], s[10:11], s[6:7]
	s_load_b64 s[22:23], s[0:1], 0x58
	s_load_b64 s[24:25], s[8:9], 0x0
	s_add_nc_u64 s[20:21], s[14:15], s[6:7]
	s_clause 0x2
	s_load_b128 s[8:11], s[14:15], 0x0
	s_load_b64 s[6:7], s[14:15], 0x10
	s_load_b64 s[20:21], s[20:21], 0x0
	s_mul_i32 s14, s19, 10
	s_wait_kmcnt 0x0
	s_mul_i32 s7, s13, s26
	s_mul_i32 s15, s14, s18
	s_add_co_i32 s19, s14, 10
	s_add_co_i32 s26, s15, s7
	s_cmp_le_u32 s19, s12
	s_mov_b32 s11, -1
	s_cselect_b32 s7, -1, 0
	s_delay_alu instid0(SALU_CYCLE_1) | instskip(SKIP_1) | instid1(SALU_CYCLE_1)
	s_and_b32 vcc_lo, exec_lo, s7
	s_mul_u64 s[24:25], s[24:25], s[2:3]
	s_add_nc_u64 s[24:25], s[24:25], s[26:27]
	s_cbranch_vccnz .LBB0_5
; %bb.1:
	v_add_nc_u32_e32 v5, s14, v3
	s_mov_b32 s11, exec_lo
	s_delay_alu instid0(VALU_DEP_1)
	v_cmpx_gt_u32_e64 s12, v5
	s_cbranch_execz .LBB0_4
; %bb.2:
	v_mad_co_u64_u32 v[1:2], null, s16, v4, 0
	s_lshl_b64 s[26:27], s[24:25], 4
	s_mov_b32 s15, 0
	s_add_nc_u64 s[26:27], s[22:23], s[26:27]
	v_lshlrev_b32_e32 v9, 4, v4
	s_delay_alu instid0(VALU_DEP_2) | instskip(NEXT) | instid1(VALU_DEP_1)
	v_mad_co_u64_u32 v[6:7], null, s17, v4, v[2:3]
	v_mov_b32_e32 v2, v6
	v_mul_u32_u24_e32 v6, 0x320, v3
	s_delay_alu instid0(VALU_DEP_2) | instskip(SKIP_1) | instid1(VALU_DEP_3)
	v_lshlrev_b64_e32 v[7:8], 4, v[1:2]
	v_mul_lo_u32 v1, v3, s18
	v_add3_u32 v6, v6, v9, 0
	v_mov_b32_e32 v2, 0
	s_delay_alu instid0(VALU_DEP_4)
	v_add_co_u32 v7, vcc_lo, s26, v7
	v_add_co_ci_u32_e32 v8, vcc_lo, s27, v8, vcc_lo
.LBB0_3:                                ; =>This Inner Loop Header: Depth=1
	s_delay_alu instid0(VALU_DEP_3) | instskip(SKIP_2) | instid1(VALU_DEP_3)
	v_lshlrev_b64_e32 v[9:10], 4, v[1:2]
	v_add_nc_u32_e32 v5, 1, v5
	v_add_nc_u32_e32 v1, s18, v1
	v_add_co_u32 v9, vcc_lo, v7, v9
	s_wait_alu 0xfffd
	s_delay_alu instid0(VALU_DEP_4)
	v_add_co_ci_u32_e32 v10, vcc_lo, v8, v10, vcc_lo
	v_cmp_le_u32_e32 vcc_lo, s12, v5
	global_load_b128 v[9:12], v[9:10], off
	s_wait_alu 0xfffe
	s_or_b32 s15, vcc_lo, s15
	s_wait_loadcnt 0x0
	ds_store_b128 v6, v[9:12]
	v_add_nc_u32_e32 v6, 0x320, v6
	s_wait_alu 0xfffe
	s_and_not1_b32 exec_lo, exec_lo, s15
	s_cbranch_execnz .LBB0_3
.LBB0_4:
	s_or_b32 exec_lo, exec_lo, s11
	s_mov_b32 s11, 0
.LBB0_5:
	s_delay_alu instid0(SALU_CYCLE_1)
	s_and_not1_b32 vcc_lo, exec_lo, s11
	s_wait_alu 0xfffe
	s_cbranch_vccnz .LBB0_7
; %bb.6:
	v_mad_co_u64_u32 v[1:2], null, s16, v4, 0
	v_mul_lo_u32 v21, s18, v3
	v_mov_b32_e32 v22, 0
	s_delay_alu instid0(VALU_DEP_3) | instskip(NEXT) | instid1(VALU_DEP_2)
	v_mad_co_u64_u32 v[7:8], null, s17, v4, v[2:3]
	v_lshlrev_b64_e32 v[5:6], 4, v[21:22]
	v_add_nc_u32_e32 v21, s18, v21
	s_lshl_b64 s[16:17], s[24:25], 4
	s_wait_alu 0xfffe
	s_add_nc_u64 s[16:17], s[22:23], s[16:17]
	s_delay_alu instid0(VALU_DEP_1) | instskip(NEXT) | instid1(VALU_DEP_4)
	v_lshlrev_b64_e32 v[8:9], 4, v[21:22]
	v_dual_mov_b32 v2, v7 :: v_dual_add_nc_u32 v21, s18, v21
	s_delay_alu instid0(VALU_DEP_1) | instskip(NEXT) | instid1(VALU_DEP_2)
	v_lshlrev_b64_e32 v[10:11], 4, v[21:22]
	v_lshlrev_b64_e32 v[1:2], 4, v[1:2]
	v_add_nc_u32_e32 v21, s18, v21
	s_delay_alu instid0(VALU_DEP_1) | instskip(SKIP_1) | instid1(VALU_DEP_3)
	v_lshlrev_b64_e32 v[12:13], 4, v[21:22]
	s_wait_alu 0xfffe
	v_add_co_u32 v31, vcc_lo, s16, v1
	v_add_nc_u32_e32 v21, s18, v21
	s_wait_alu 0xfffd
	v_add_co_ci_u32_e32 v32, vcc_lo, s17, v2, vcc_lo
	s_delay_alu instid0(VALU_DEP_3) | instskip(NEXT) | instid1(VALU_DEP_3)
	v_add_co_u32 v5, vcc_lo, v31, v5
	v_lshlrev_b64_e32 v[1:2], 4, v[21:22]
	s_wait_alu 0xfffd
	s_delay_alu instid0(VALU_DEP_3)
	v_add_co_ci_u32_e32 v6, vcc_lo, v32, v6, vcc_lo
	v_add_nc_u32_e32 v21, s18, v21
	v_add_co_u32 v14, vcc_lo, v31, v8
	s_wait_alu 0xfffd
	v_add_co_ci_u32_e32 v15, vcc_lo, v32, v9, vcc_lo
	v_add_co_u32 v16, vcc_lo, v31, v10
	v_lshlrev_b64_e32 v[23:24], 4, v[21:22]
	v_add_nc_u32_e32 v21, s18, v21
	s_wait_alu 0xfffd
	v_add_co_ci_u32_e32 v17, vcc_lo, v32, v11, vcc_lo
	v_add_co_u32 v18, vcc_lo, v31, v12
	s_wait_alu 0xfffd
	v_add_co_ci_u32_e32 v19, vcc_lo, v32, v13, vcc_lo
	v_add_co_u32 v1, vcc_lo, v31, v1
	v_lshlrev_b64_e32 v[25:26], 4, v[21:22]
	v_add_nc_u32_e32 v21, s18, v21
	s_wait_alu 0xfffd
	v_add_co_ci_u32_e32 v2, vcc_lo, v32, v2, vcc_lo
	v_add_co_u32 v27, vcc_lo, v31, v23
	s_wait_alu 0xfffd
	v_add_co_ci_u32_e32 v28, vcc_lo, v32, v24, vcc_lo
	v_lshlrev_b64_e32 v[23:24], 4, v[21:22]
	v_add_nc_u32_e32 v21, s18, v21
	v_add_co_u32 v29, vcc_lo, v31, v25
	s_wait_alu 0xfffd
	v_add_co_ci_u32_e32 v30, vcc_lo, v32, v26, vcc_lo
	s_delay_alu instid0(VALU_DEP_3) | instskip(SKIP_4) | instid1(VALU_DEP_3)
	v_lshlrev_b64_e32 v[25:26], 4, v[21:22]
	v_add_nc_u32_e32 v21, s18, v21
	v_add_co_u32 v33, vcc_lo, v31, v23
	s_wait_alu 0xfffd
	v_add_co_ci_u32_e32 v34, vcc_lo, v32, v24, vcc_lo
	v_lshlrev_b64_e32 v[21:22], 4, v[21:22]
	v_add_co_u32 v37, vcc_lo, v31, v25
	s_wait_alu 0xfffd
	v_add_co_ci_u32_e32 v38, vcc_lo, v32, v26, vcc_lo
	s_clause 0x3
	global_load_b128 v[5:8], v[5:6], off
	global_load_b128 v[9:12], v[14:15], off
	;; [unrolled: 1-line block ×4, first 2 shown]
	v_add_co_u32 v41, vcc_lo, v31, v21
	s_wait_alu 0xfffd
	v_add_co_ci_u32_e32 v42, vcc_lo, v32, v22, vcc_lo
	s_clause 0x5
	global_load_b128 v[21:24], v[1:2], off
	global_load_b128 v[25:28], v[27:28], off
	;; [unrolled: 1-line block ×6, first 2 shown]
	v_mul_u32_u24_e32 v1, 0x320, v3
	v_lshlrev_b32_e32 v2, 4, v4
	s_delay_alu instid0(VALU_DEP_1)
	v_add3_u32 v1, 0, v1, v2
	s_wait_loadcnt 0x9
	ds_store_b128 v1, v[5:8]
	s_wait_loadcnt 0x8
	ds_store_b128 v1, v[9:12] offset:800
	v_add_nc_u32_e32 v2, 0x800, v1
	v_add_nc_u32_e32 v3, 0x1000, v1
	s_wait_loadcnt 0x7
	ds_store_b128 v1, v[13:16] offset:1600
	s_wait_loadcnt 0x6
	ds_store_b128 v1, v[17:20] offset:2400
	v_add_nc_u32_e32 v1, 0x1800, v1
	s_wait_loadcnt 0x5
	ds_store_2addr_b64 v2, v[21:22], v[23:24] offset0:144 offset1:145
	s_wait_loadcnt 0x4
	ds_store_2addr_b64 v2, v[25:26], v[27:28] offset0:244 offset1:245
	;; [unrolled: 2-line block ×6, first 2 shown]
.LBB0_7:
	v_and_b32_e32 v1, 0xffff, v0
	v_mul_hi_u32 v3, 0x33333334, v0
	global_wb scope:SCOPE_SE
	s_wait_dscnt 0x0
	s_barrier_signal -1
	s_barrier_wait -1
	v_mul_u32_u24_e32 v1, 0x3334, v1
	global_inv scope:SCOPE_SE
	s_mov_b32 s18, 0x134454ff
	s_mov_b32 s19, 0xbfee6f0e
	v_mul_u32_u24_e32 v3, 5, v3
	v_lshrrev_b32_e32 v1, 16, v1
	s_mov_b32 s23, 0x3fee6f0e
	s_wait_alu 0xfffe
	s_mov_b32 s22, s18
	s_mov_b32 s24, 0x4755a5e
	;; [unrolled: 1-line block ×3, first 2 shown]
	v_add_nc_u32_e32 v1, s14, v1
	s_mov_b32 s27, 0x3fe2cf23
	s_mov_b32 s26, s24
	;; [unrolled: 1-line block ×4, first 2 shown]
	v_mul_hi_u32 v2, 0xcccccccd, v1
	s_mov_b32 s28, 0x9b97f4a8
	s_mov_b32 s31, 0xbfd3c6ef
	s_wait_alu 0xfffe
	s_mov_b32 s30, s16
	s_mov_b32 s29, 0x3fe9e377
	;; [unrolled: 1-line block ×4, first 2 shown]
	v_lshrrev_b32_e32 v2, 3, v2
	s_delay_alu instid0(VALU_DEP_1) | instskip(NEXT) | instid1(VALU_DEP_1)
	v_mul_lo_u32 v2, v2, 10
	v_sub_nc_u32_e32 v1, v1, v2
	v_sub_nc_u32_e32 v2, v0, v3
	s_delay_alu instid0(VALU_DEP_2) | instskip(NEXT) | instid1(VALU_DEP_2)
	v_mul_u32_u24_e32 v1, 50, v1
	v_lshlrev_b32_e32 v3, 4, v2
	s_delay_alu instid0(VALU_DEP_2) | instskip(NEXT) | instid1(VALU_DEP_1)
	v_lshlrev_b32_e32 v42, 4, v1
	v_add3_u32 v1, 0, v3, v42
	v_add3_u32 v3, 0, v42, v3
	ds_load_b128 v[4:7], v1 offset:240
	ds_load_b128 v[8:11], v1 offset:400
	;; [unrolled: 1-line block ×8, first 2 shown]
	s_wait_dscnt 0x6
	v_add_f64_e64 v[66:67], v[4:5], -v[8:9]
	s_wait_dscnt 0x5
	v_add_f64_e32 v[36:37], v[10:11], v[14:15]
	s_wait_dscnt 0x4
	v_add_f64_e32 v[38:39], v[6:7], v[18:19]
	v_add_f64_e32 v[40:41], v[8:9], v[12:13]
	;; [unrolled: 1-line block ×3, first 2 shown]
	v_add_f64_e64 v[46:47], v[4:5], -v[16:17]
	v_add_f64_e64 v[48:49], v[8:9], -v[12:13]
	;; [unrolled: 1-line block ×3, first 2 shown]
	s_wait_dscnt 0x0
	v_add_f64_e32 v[58:59], v[28:29], v[32:33]
	v_add_f64_e32 v[62:63], v[30:31], v[34:35]
	v_add_f64_e64 v[68:69], v[16:17], -v[12:13]
	v_add_f64_e64 v[70:71], v[10:11], -v[14:15]
	;; [unrolled: 1-line block ×6, first 2 shown]
	v_add_f64_e32 v[6:7], v[22:23], v[6:7]
	v_add_f64_e64 v[90:91], v[12:13], -v[16:17]
	v_fma_f64 v[50:51], v[36:37], -0.5, v[22:23]
	v_fma_f64 v[52:53], v[38:39], -0.5, v[22:23]
	;; [unrolled: 1-line block ×3, first 2 shown]
	ds_load_b128 v[36:39], v1 offset:640
	ds_load_b128 v[40:43], v3
	v_fma_f64 v[44:45], v[44:45], -0.5, v[20:21]
	v_add_f64_e32 v[20:21], v[20:21], v[4:5]
	v_add_f64_e64 v[4:5], v[8:9], -v[4:5]
	global_wb scope:SCOPE_SE
	s_wait_dscnt 0x0
	v_add_f64_e32 v[66:67], v[66:67], v[68:69]
	v_add_f64_e64 v[68:69], v[28:29], -v[32:33]
	s_barrier_signal -1
	v_add_f64_e32 v[72:73], v[72:73], v[74:75]
	s_barrier_wait -1
	v_add_f64_e32 v[76:77], v[76:77], v[78:79]
	v_add_f64_e32 v[6:7], v[6:7], v[10:11]
	global_inv scope:SCOPE_SE
	v_add_f64_e32 v[60:61], v[24:25], v[36:37]
	v_add_f64_e32 v[64:65], v[26:27], v[38:39]
	;; [unrolled: 1-line block ×4, first 2 shown]
	v_add_f64_e64 v[22:23], v[26:27], -v[38:39]
	v_fma_f64 v[58:59], v[58:59], -0.5, v[40:41]
	v_fma_f64 v[80:81], v[46:47], s[22:23], v[50:51]
	v_fma_f64 v[82:83], v[48:49], s[18:19], v[52:53]
	;; [unrolled: 1-line block ×8, first 2 shown]
	v_add_f64_e32 v[8:9], v[20:21], v[8:9]
	v_add_f64_e32 v[4:5], v[4:5], v[90:91]
	v_add_f64_e64 v[90:91], v[34:35], -v[38:39]
	v_add_f64_e32 v[6:7], v[6:7], v[14:15]
	v_fma_f64 v[40:41], v[60:61], -0.5, v[40:41]
	v_fma_f64 v[60:61], v[62:63], -0.5, v[42:43]
	;; [unrolled: 1-line block ×3, first 2 shown]
	v_add_f64_e64 v[62:63], v[30:31], -v[34:35]
	v_add_f64_e64 v[64:65], v[24:25], -v[36:37]
	v_fma_f64 v[10:11], v[22:23], s[18:19], v[58:59]
	v_fma_f64 v[20:21], v[22:23], s[22:23], v[58:59]
	;; [unrolled: 1-line block ×7, first 2 shown]
	v_add_f64_e64 v[52:53], v[24:25], -v[28:29]
	v_add_f64_e64 v[24:25], v[28:29], -v[24:25]
	;; [unrolled: 1-line block ×4, first 2 shown]
	v_add_f64_e32 v[28:29], v[86:87], v[28:29]
	v_add_f64_e32 v[30:31], v[88:89], v[30:31]
	v_add_f64_e64 v[84:85], v[36:37], -v[32:33]
	v_add_f64_e64 v[88:89], v[38:39], -v[34:35]
	v_fma_f64 v[56:57], v[70:71], s[26:27], v[56:57]
	v_fma_f64 v[74:75], v[54:55], s[24:25], v[74:75]
	;; [unrolled: 1-line block ×3, first 2 shown]
	v_add_f64_e64 v[86:87], v[32:33], -v[36:37]
	v_add_f64_e32 v[8:9], v[8:9], v[12:13]
	v_fma_f64 v[54:55], v[68:69], s[18:19], v[42:43]
	v_fma_f64 v[58:59], v[62:63], s[22:23], v[40:41]
	;; [unrolled: 1-line block ×13, first 2 shown]
	v_add_f64_e32 v[26:27], v[26:27], v[90:91]
	v_add_f64_e32 v[28:29], v[28:29], v[32:33]
	;; [unrolled: 1-line block ×8, first 2 shown]
	v_fma_f64 v[34:35], v[64:65], s[26:27], v[54:55]
	v_fma_f64 v[14:15], v[22:23], s[24:25], v[58:59]
	;; [unrolled: 1-line block ×9, first 2 shown]
	v_mul_f64_e32 v[44:45], s[24:25], v[78:79]
	v_mul_f64_e32 v[56:57], s[18:19], v[80:81]
	;; [unrolled: 1-line block ×8, first 2 shown]
	v_mad_u32_u24 v80, 0x90, v2, v1
	v_add_f64_e32 v[28:29], v[28:29], v[36:37]
	v_add_f64_e32 v[30:31], v[30:31], v[38:39]
	v_fma_f64 v[36:37], v[52:53], s[16:17], v[10:11]
	v_fma_f64 v[38:39], v[52:53], s[16:17], v[12:13]
	v_mad_i32_i24 v92, 0xffffff70, v2, v80
	v_fma_f64 v[34:35], v[26:27], s[16:17], v[34:35]
	v_fma_f64 v[52:53], v[24:25], s[16:17], v[14:15]
	;; [unrolled: 1-line block ×14, first 2 shown]
	v_add_f64_e32 v[4:5], v[28:29], v[8:9]
	v_add_f64_e32 v[6:7], v[30:31], v[16:17]
	v_add_f64_e64 v[10:11], v[30:31], -v[16:17]
	v_add_f64_e64 v[8:9], v[28:29], -v[8:9]
	v_add_f64_e32 v[12:13], v[36:37], v[32:33]
	v_add_f64_e32 v[16:17], v[52:53], v[40:41]
	;; [unrolled: 1-line block ×8, first 2 shown]
	v_add_f64_e64 v[28:29], v[36:37], -v[32:33]
	v_add_f64_e64 v[30:31], v[68:69], -v[56:57]
	;; [unrolled: 1-line block ×8, first 2 shown]
	v_lshlrev_b32_e32 v44, 6, v2
	ds_store_b128 v80, v[4:7]
	ds_store_b128 v80, v[12:15] offset:16
	ds_store_b128 v80, v[16:19] offset:32
	;; [unrolled: 1-line block ×9, first 2 shown]
	global_wb scope:SCOPE_SE
	s_wait_dscnt 0x0
	s_barrier_signal -1
	s_barrier_wait -1
	global_inv scope:SCOPE_SE
	s_clause 0x1
	global_load_b128 v[4:7], v44, s[4:5]
	global_load_b128 v[8:11], v44, s[4:5] offset:16
	v_add_nc_u32_e32 v32, 0x140, v44
	s_clause 0x5
	global_load_b128 v[12:15], v44, s[4:5] offset:32
	global_load_b128 v[16:19], v44, s[4:5] offset:48
	global_load_b128 v[20:23], v32, s[4:5]
	global_load_b128 v[24:27], v32, s[4:5] offset:16
	global_load_b128 v[28:31], v32, s[4:5] offset:32
	;; [unrolled: 1-line block ×3, first 2 shown]
	ds_load_b128 v[36:39], v1 offset:160
	ds_load_b128 v[40:43], v1 offset:320
	ds_load_b128 v[44:47], v1 offset:240
	ds_load_b128 v[48:51], v1 offset:480
	ds_load_b128 v[52:55], v1 offset:640
	ds_load_b128 v[56:59], v1 offset:400
	ds_load_b128 v[60:63], v1 offset:560
	ds_load_b128 v[64:67], v1 offset:720
	s_mov_b32 s5, 0
	s_wait_loadcnt_dscnt 0x504
	v_mul_f64_e32 v[72:73], v[50:51], v[14:15]
	v_mul_f64_e32 v[68:69], v[38:39], v[6:7]
	;; [unrolled: 1-line block ×6, first 2 shown]
	s_wait_loadcnt_dscnt 0x403
	v_mul_f64_e32 v[74:75], v[54:55], v[18:19]
	v_mul_f64_e32 v[18:19], v[52:53], v[18:19]
	s_wait_loadcnt 0x3
	v_mul_f64_e32 v[76:77], v[46:47], v[22:23]
	v_mul_f64_e32 v[22:23], v[44:45], v[22:23]
	s_wait_loadcnt_dscnt 0x202
	v_mul_f64_e32 v[78:79], v[58:59], v[26:27]
	v_fma_f64 v[36:37], v[36:37], v[4:5], v[68:69]
	v_fma_f64 v[38:39], v[38:39], v[4:5], -v[6:7]
	v_mul_f64_e32 v[4:5], v[56:57], v[26:27]
	s_wait_loadcnt_dscnt 0x101
	v_mul_f64_e32 v[6:7], v[62:63], v[30:31]
	v_mul_f64_e32 v[26:27], v[60:61], v[30:31]
	s_wait_loadcnt_dscnt 0x0
	v_mul_f64_e32 v[30:31], v[66:67], v[34:35]
	v_fma_f64 v[40:41], v[40:41], v[8:9], v[70:71]
	v_fma_f64 v[42:43], v[42:43], v[8:9], -v[10:11]
	v_mul_f64_e32 v[8:9], v[64:65], v[34:35]
	v_fma_f64 v[34:35], v[48:49], v[12:13], v[72:73]
	v_fma_f64 v[11:12], v[50:51], v[12:13], -v[14:15]
	v_fma_f64 v[13:14], v[52:53], v[16:17], v[74:75]
	v_fma_f64 v[15:16], v[54:55], v[16:17], -v[18:19]
	;; [unrolled: 2-line block ×5, first 2 shown]
	v_fma_f64 v[30:31], v[64:65], v[32:33], v[30:31]
	ds_load_b128 v[3:6], v3
	v_add_f64_e64 v[60:61], v[36:37], -v[40:41]
	v_fma_f64 v[27:28], v[66:67], v[32:33], -v[8:9]
	ds_load_b128 v[7:10], v92 offset:80
	v_add_f64_e32 v[32:33], v[40:41], v[34:35]
	v_add_f64_e32 v[46:47], v[36:37], v[13:14]
	;; [unrolled: 1-line block ×4, first 2 shown]
	v_add_f64_e64 v[62:63], v[13:14], -v[34:35]
	v_add_f64_e64 v[66:67], v[40:41], -v[36:37]
	;; [unrolled: 1-line block ×9, first 2 shown]
	global_wb scope:SCOPE_SE
	s_wait_dscnt 0x0
	s_barrier_signal -1
	s_barrier_wait -1
	v_add_f64_e32 v[64:65], v[3:4], v[36:37]
	v_add_f64_e32 v[70:71], v[5:6], v[38:39]
	v_add_f64_e64 v[38:39], v[38:39], -v[15:16]
	v_add_f64_e32 v[80:81], v[7:8], v[17:18]
	v_add_f64_e32 v[90:91], v[9:10], v[19:20]
	v_add_f64_e64 v[36:37], v[36:37], -v[13:14]
	global_inv scope:SCOPE_SE
	v_add_f64_e32 v[52:53], v[21:22], v[44:45]
	v_add_f64_e32 v[56:57], v[23:24], v[25:26]
	;; [unrolled: 1-line block ×3, first 2 shown]
	v_add_f64_e64 v[84:85], v[30:31], -v[44:45]
	v_add_f64_e64 v[88:89], v[44:45], -v[30:31]
	v_add_f64_e32 v[58:59], v[19:20], v[27:28]
	v_add_f64_e64 v[17:18], v[17:18], -v[30:31]
	v_fma_f64 v[32:33], v[32:33], -0.5, v[3:4]
	v_fma_f64 v[2:3], v[46:47], -0.5, v[3:4]
	;; [unrolled: 1-line block ×4, first 2 shown]
	v_add_f64_e64 v[48:49], v[19:20], -v[23:24]
	v_add_f64_e64 v[50:51], v[27:28], -v[25:26]
	v_add_f64_e32 v[60:61], v[60:61], v[62:63]
	v_add_f64_e64 v[62:63], v[42:43], -v[11:12]
	v_add_f64_e32 v[66:67], v[66:67], v[68:69]
	;; [unrolled: 2-line block ×3, first 2 shown]
	v_add_f64_e32 v[74:75], v[76:77], v[78:79]
	v_add_f64_e32 v[64:65], v[64:65], v[40:41]
	v_add_f64_e64 v[40:41], v[40:41], -v[34:35]
	v_add_f64_e32 v[42:43], v[70:71], v[42:43]
	v_add_f64_e64 v[70:71], v[21:22], -v[44:45]
	v_add_f64_e32 v[21:22], v[80:81], v[21:22]
	v_fma_f64 v[52:53], v[52:53], -0.5, v[7:8]
	v_fma_f64 v[6:7], v[54:55], -0.5, v[7:8]
	;; [unrolled: 1-line block ×3, first 2 shown]
	v_add_f64_e64 v[56:57], v[23:24], -v[19:20]
	v_fma_f64 v[8:9], v[58:59], -0.5, v[9:10]
	v_add_f64_e64 v[58:59], v[25:26], -v[27:28]
	v_add_f64_e64 v[19:20], v[19:20], -v[27:28]
	v_add_f64_e32 v[23:24], v[90:91], v[23:24]
	v_fma_f64 v[80:81], v[36:37], s[22:23], v[46:47]
	v_add_f64_e32 v[76:77], v[82:83], v[84:85]
	v_fma_f64 v[46:47], v[36:37], s[18:19], v[46:47]
	v_add_f64_e32 v[48:49], v[48:49], v[50:51]
	v_add_f64_e32 v[78:79], v[86:87], v[88:89]
	;; [unrolled: 1-line block ×3, first 2 shown]
	v_fma_f64 v[82:83], v[40:41], s[18:19], v[4:5]
	v_fma_f64 v[4:5], v[40:41], s[22:23], v[4:5]
	v_add_f64_e32 v[10:11], v[42:43], v[11:12]
	v_add_f64_e32 v[21:22], v[21:22], v[44:45]
	v_fma_f64 v[86:87], v[68:69], s[22:23], v[6:7]
	v_fma_f64 v[88:89], v[17:18], s[22:23], v[54:55]
	;; [unrolled: 1-line block ×4, first 2 shown]
	v_add_f64_e32 v[50:51], v[56:57], v[58:59]
	v_fma_f64 v[56:57], v[38:39], s[18:19], v[32:33]
	v_fma_f64 v[58:59], v[62:63], s[22:23], v[2:3]
	;; [unrolled: 1-line block ×8, first 2 shown]
	v_add_f64_e32 v[23:24], v[23:24], v[25:26]
	v_fma_f64 v[44:45], v[40:41], s[26:27], v[80:81]
	v_fma_f64 v[40:41], v[40:41], s[24:25], v[46:47]
	;; [unrolled: 1-line block ×16, first 2 shown]
	v_add_f64_e32 v[3:4], v[34:35], v[13:14]
	v_add_f64_e32 v[5:6], v[10:11], v[15:16]
	v_fma_f64 v[13:14], v[72:73], s[16:17], v[44:45]
	v_add_f64_e32 v[7:8], v[21:22], v[30:31]
	v_add_f64_e32 v[9:10], v[23:24], v[27:28]
	v_fma_f64 v[17:18], v[72:73], s[16:17], v[40:41]
	v_fma_f64 v[21:22], v[74:75], s[16:17], v[46:47]
	v_mul_hi_u32 v2, 0x1999999a, v0
	v_fma_f64 v[11:12], v[60:61], s[16:17], v[25:26]
	v_fma_f64 v[19:20], v[66:67], s[16:17], v[42:43]
	;; [unrolled: 1-line block ×13, first 2 shown]
	v_mul_u32_u24_e32 v43, 10, v2
	ds_store_b128 v92, v[3:6]
	ds_store_b128 v1, v[11:14] offset:160
	ds_store_b128 v1, v[19:22] offset:320
	;; [unrolled: 1-line block ×5, first 2 shown]
	ds_store_2addr_b64 v92, v[27:28], v[35:36] offset0:30 offset1:31
	ds_store_2addr_b64 v92, v[31:32], v[37:38] offset0:50 offset1:51
	ds_store_2addr_b64 v92, v[33:34], v[39:40] offset0:70 offset1:71
	ds_store_2addr_b64 v92, v[29:30], v[41:42] offset0:90 offset1:91
	v_sub_nc_u32_e32 v0, v0, v43
	global_wb scope:SCOPE_SE
	s_wait_dscnt 0x0
	s_barrier_signal -1
	s_barrier_wait -1
	global_inv scope:SCOPE_SE
	v_add_nc_u32_e32 v43, s14, v0
	s_delay_alu instid0(VALU_DEP_1) | instskip(SKIP_1) | instid1(SALU_CYCLE_1)
	v_cmp_gt_u32_e32 vcc_lo, s12, v43
	s_or_b32 s4, s7, vcc_lo
	s_and_saveexec_b32 s7, s4
	s_cbranch_execz .LBB0_9
; %bb.8:
	v_mad_co_u64_u32 v[3:4], null, s8, v0, 0
	s_load_b64 s[0:1], s[0:1], 0x60
	v_mul_lo_u32 v20, v2, s6
	s_mul_i32 s4, s13, s10
	s_mul_i32 s10, s6, 5
	v_mov_b32_e32 v21, 0
	s_mov_b32 s15, s5
	s_delay_alu instid0(VALU_DEP_3)
	v_mov_b32_e32 v1, v4
	s_wait_alu 0xfffe
	s_mul_u64 s[6:7], s[8:9], s[14:15]
	s_mul_u64 s[2:3], s[20:21], s[2:3]
	v_lshlrev_b64_e32 v[8:9], 4, v[20:21]
	v_add_nc_u32_e32 v20, s10, v20
	v_mad_co_u64_u32 v[4:5], null, s9, v0, v[1:2]
	v_mul_i32_i24_e32 v0, 0x320, v0
	v_lshlrev_b32_e32 v1, 4, v2
	s_wait_alu 0xfffe
	s_lshl_b64 s[6:7], s[6:7], 4
	s_lshl_b64 s[4:5], s[4:5], 4
	s_lshl_b64 s[2:3], s[2:3], 4
	v_lshlrev_b64_e32 v[12:13], 4, v[20:21]
	v_add3_u32 v28, 0, v0, v1
	s_wait_kmcnt 0x0
	s_wait_alu 0xfffe
	s_add_nc_u64 s[0:1], s[0:1], s[6:7]
	v_lshlrev_b64_e32 v[10:11], 4, v[3:4]
	ds_load_b128 v[0:3], v28
	ds_load_b128 v[4:7], v28 offset:80
	s_add_nc_u64 s[0:1], s[0:1], s[4:5]
	v_add_nc_u32_e32 v20, s10, v20
	s_add_nc_u64 s[0:1], s[0:1], s[2:3]
	s_delay_alu instid0(SALU_CYCLE_1) | instskip(SKIP_2) | instid1(VALU_DEP_2)
	v_add_co_u32 v30, vcc_lo, s0, v10
	s_wait_alu 0xfffd
	v_add_co_ci_u32_e32 v31, vcc_lo, s1, v11, vcc_lo
	v_add_co_u32 v8, vcc_lo, v30, v8
	s_wait_alu 0xfffd
	s_delay_alu instid0(VALU_DEP_2)
	v_add_co_ci_u32_e32 v9, vcc_lo, v31, v9, vcc_lo
	v_add_co_u32 v10, vcc_lo, v30, v12
	s_wait_alu 0xfffd
	v_add_co_ci_u32_e32 v11, vcc_lo, v31, v13, vcc_lo
	s_wait_dscnt 0x1
	global_store_b128 v[8:9], v[0:3], off
	s_wait_dscnt 0x0
	global_store_b128 v[10:11], v[4:7], off
	v_lshlrev_b64_e32 v[12:13], 4, v[20:21]
	v_add_nc_u32_e32 v20, s10, v20
	ds_load_b128 v[0:3], v28 offset:160
	ds_load_b128 v[4:7], v28 offset:240
	;; [unrolled: 1-line block ×3, first 2 shown]
	v_lshlrev_b64_e32 v[14:15], 4, v[20:21]
	v_add_nc_u32_e32 v20, s10, v20
	v_add_co_u32 v12, vcc_lo, v30, v12
	s_wait_alu 0xfffd
	v_add_co_ci_u32_e32 v13, vcc_lo, v31, v13, vcc_lo
	s_delay_alu instid0(VALU_DEP_3) | instskip(SKIP_4) | instid1(VALU_DEP_3)
	v_lshlrev_b64_e32 v[16:17], 4, v[20:21]
	v_add_nc_u32_e32 v20, s10, v20
	v_add_co_u32 v14, vcc_lo, v30, v14
	s_wait_alu 0xfffd
	v_add_co_ci_u32_e32 v15, vcc_lo, v31, v15, vcc_lo
	v_lshlrev_b64_e32 v[18:19], 4, v[20:21]
	v_add_nc_u32_e32 v20, s10, v20
	v_add_co_u32 v16, vcc_lo, v30, v16
	s_wait_dscnt 0x2
	global_store_b128 v[12:13], v[0:3], off
	s_wait_dscnt 0x1
	global_store_b128 v[14:15], v[4:7], off
	s_wait_alu 0xfffd
	v_add_co_ci_u32_e32 v17, vcc_lo, v31, v17, vcc_lo
	v_lshlrev_b64_e32 v[4:5], 4, v[20:21]
	v_add_co_u32 v22, vcc_lo, v30, v18
	v_add_nc_u32_e32 v20, s10, v20
	s_wait_alu 0xfffd
	v_add_co_ci_u32_e32 v23, vcc_lo, v31, v19, vcc_lo
	s_delay_alu instid0(VALU_DEP_4)
	v_add_co_u32 v24, vcc_lo, v30, v4
	s_wait_dscnt 0x0
	global_store_b128 v[16:17], v[8:11], off
	ds_load_b128 v[0:3], v28 offset:400
	s_wait_alu 0xfffd
	v_add_co_ci_u32_e32 v25, vcc_lo, v31, v5, vcc_lo
	ds_load_b128 v[4:7], v28 offset:480
	ds_load_b128 v[8:11], v28 offset:560
	;; [unrolled: 1-line block ×4, first 2 shown]
	v_lshlrev_b64_e32 v[26:27], 4, v[20:21]
	v_add_nc_u32_e32 v20, s10, v20
	s_delay_alu instid0(VALU_DEP_1) | instskip(SKIP_1) | instid1(VALU_DEP_4)
	v_lshlrev_b64_e32 v[28:29], 4, v[20:21]
	v_add_nc_u32_e32 v20, s10, v20
	v_add_co_u32 v26, vcc_lo, v30, v26
	s_wait_alu 0xfffd
	v_add_co_ci_u32_e32 v27, vcc_lo, v31, v27, vcc_lo
	s_delay_alu instid0(VALU_DEP_3) | instskip(SKIP_3) | instid1(VALU_DEP_3)
	v_lshlrev_b64_e32 v[20:21], 4, v[20:21]
	v_add_co_u32 v28, vcc_lo, v30, v28
	s_wait_alu 0xfffd
	v_add_co_ci_u32_e32 v29, vcc_lo, v31, v29, vcc_lo
	v_add_co_u32 v20, vcc_lo, v30, v20
	s_wait_alu 0xfffd
	v_add_co_ci_u32_e32 v21, vcc_lo, v31, v21, vcc_lo
	s_wait_dscnt 0x4
	global_store_b128 v[22:23], v[0:3], off
	s_wait_dscnt 0x3
	global_store_b128 v[24:25], v[4:7], off
	;; [unrolled: 2-line block ×5, first 2 shown]
.LBB0_9:
	s_nop 0
	s_sendmsg sendmsg(MSG_DEALLOC_VGPRS)
	s_endpgm
	.section	.rodata,"a",@progbits
	.p2align	6, 0x0
	.amdhsa_kernel fft_rtc_back_len50_factors_10_5_wgs_50_tpt_5_dp_op_CI_CI_sbrc_z_xy_unaligned
		.amdhsa_group_segment_fixed_size 0
		.amdhsa_private_segment_fixed_size 0
		.amdhsa_kernarg_size 104
		.amdhsa_user_sgpr_count 2
		.amdhsa_user_sgpr_dispatch_ptr 0
		.amdhsa_user_sgpr_queue_ptr 0
		.amdhsa_user_sgpr_kernarg_segment_ptr 1
		.amdhsa_user_sgpr_dispatch_id 0
		.amdhsa_user_sgpr_private_segment_size 0
		.amdhsa_wavefront_size32 1
		.amdhsa_uses_dynamic_stack 0
		.amdhsa_enable_private_segment 0
		.amdhsa_system_sgpr_workgroup_id_x 1
		.amdhsa_system_sgpr_workgroup_id_y 0
		.amdhsa_system_sgpr_workgroup_id_z 0
		.amdhsa_system_sgpr_workgroup_info 0
		.amdhsa_system_vgpr_workitem_id 0
		.amdhsa_next_free_vgpr 93
		.amdhsa_next_free_sgpr 36
		.amdhsa_reserve_vcc 1
		.amdhsa_float_round_mode_32 0
		.amdhsa_float_round_mode_16_64 0
		.amdhsa_float_denorm_mode_32 3
		.amdhsa_float_denorm_mode_16_64 3
		.amdhsa_fp16_overflow 0
		.amdhsa_workgroup_processor_mode 1
		.amdhsa_memory_ordered 1
		.amdhsa_forward_progress 0
		.amdhsa_round_robin_scheduling 0
		.amdhsa_exception_fp_ieee_invalid_op 0
		.amdhsa_exception_fp_denorm_src 0
		.amdhsa_exception_fp_ieee_div_zero 0
		.amdhsa_exception_fp_ieee_overflow 0
		.amdhsa_exception_fp_ieee_underflow 0
		.amdhsa_exception_fp_ieee_inexact 0
		.amdhsa_exception_int_div_zero 0
	.end_amdhsa_kernel
	.text
.Lfunc_end0:
	.size	fft_rtc_back_len50_factors_10_5_wgs_50_tpt_5_dp_op_CI_CI_sbrc_z_xy_unaligned, .Lfunc_end0-fft_rtc_back_len50_factors_10_5_wgs_50_tpt_5_dp_op_CI_CI_sbrc_z_xy_unaligned
                                        ; -- End function
	.section	.AMDGPU.csdata,"",@progbits
; Kernel info:
; codeLenInByte = 4952
; NumSgprs: 38
; NumVgprs: 93
; ScratchSize: 0
; MemoryBound: 0
; FloatMode: 240
; IeeeMode: 1
; LDSByteSize: 0 bytes/workgroup (compile time only)
; SGPRBlocks: 4
; VGPRBlocks: 11
; NumSGPRsForWavesPerEU: 38
; NumVGPRsForWavesPerEU: 93
; Occupancy: 16
; WaveLimiterHint : 1
; COMPUTE_PGM_RSRC2:SCRATCH_EN: 0
; COMPUTE_PGM_RSRC2:USER_SGPR: 2
; COMPUTE_PGM_RSRC2:TRAP_HANDLER: 0
; COMPUTE_PGM_RSRC2:TGID_X_EN: 1
; COMPUTE_PGM_RSRC2:TGID_Y_EN: 0
; COMPUTE_PGM_RSRC2:TGID_Z_EN: 0
; COMPUTE_PGM_RSRC2:TIDIG_COMP_CNT: 0
	.text
	.p2alignl 7, 3214868480
	.fill 96, 4, 3214868480
	.type	__hip_cuid_ff1b31a757f6f0ea,@object ; @__hip_cuid_ff1b31a757f6f0ea
	.section	.bss,"aw",@nobits
	.globl	__hip_cuid_ff1b31a757f6f0ea
__hip_cuid_ff1b31a757f6f0ea:
	.byte	0                               ; 0x0
	.size	__hip_cuid_ff1b31a757f6f0ea, 1

	.ident	"AMD clang version 19.0.0git (https://github.com/RadeonOpenCompute/llvm-project roc-6.4.0 25133 c7fe45cf4b819c5991fe208aaa96edf142730f1d)"
	.section	".note.GNU-stack","",@progbits
	.addrsig
	.addrsig_sym __hip_cuid_ff1b31a757f6f0ea
	.amdgpu_metadata
---
amdhsa.kernels:
  - .args:
      - .actual_access:  read_only
        .address_space:  global
        .offset:         0
        .size:           8
        .value_kind:     global_buffer
      - .offset:         8
        .size:           8
        .value_kind:     by_value
      - .actual_access:  read_only
        .address_space:  global
        .offset:         16
        .size:           8
        .value_kind:     global_buffer
      - .actual_access:  read_only
        .address_space:  global
        .offset:         24
        .size:           8
        .value_kind:     global_buffer
      - .actual_access:  read_only
        .address_space:  global
        .offset:         32
        .size:           8
        .value_kind:     global_buffer
      - .offset:         40
        .size:           8
        .value_kind:     by_value
      - .actual_access:  read_only
        .address_space:  global
        .offset:         48
        .size:           8
        .value_kind:     global_buffer
      - .actual_access:  read_only
        .address_space:  global
        .offset:         56
        .size:           8
        .value_kind:     global_buffer
      - .offset:         64
        .size:           4
        .value_kind:     by_value
      - .actual_access:  read_only
        .address_space:  global
        .offset:         72
        .size:           8
        .value_kind:     global_buffer
      - .actual_access:  read_only
        .address_space:  global
        .offset:         80
        .size:           8
        .value_kind:     global_buffer
      - .actual_access:  read_only
        .address_space:  global
        .offset:         88
        .size:           8
        .value_kind:     global_buffer
      - .actual_access:  write_only
        .address_space:  global
        .offset:         96
        .size:           8
        .value_kind:     global_buffer
    .group_segment_fixed_size: 0
    .kernarg_segment_align: 8
    .kernarg_segment_size: 104
    .language:       OpenCL C
    .language_version:
      - 2
      - 0
    .max_flat_workgroup_size: 50
    .name:           fft_rtc_back_len50_factors_10_5_wgs_50_tpt_5_dp_op_CI_CI_sbrc_z_xy_unaligned
    .private_segment_fixed_size: 0
    .sgpr_count:     38
    .sgpr_spill_count: 0
    .symbol:         fft_rtc_back_len50_factors_10_5_wgs_50_tpt_5_dp_op_CI_CI_sbrc_z_xy_unaligned.kd
    .uniform_work_group_size: 1
    .uses_dynamic_stack: false
    .vgpr_count:     93
    .vgpr_spill_count: 0
    .wavefront_size: 32
    .workgroup_processor_mode: 1
amdhsa.target:   amdgcn-amd-amdhsa--gfx1201
amdhsa.version:
  - 1
  - 2
...

	.end_amdgpu_metadata
